;; amdgpu-corpus repo=ROCm/rocFFT kind=compiled arch=gfx1100 opt=O3
	.text
	.amdgcn_target "amdgcn-amd-amdhsa--gfx1100"
	.amdhsa_code_object_version 6
	.protected	fft_rtc_fwd_len1430_factors_13_11_10_wgs_143_tpt_143_dp_op_CI_CI_unitstride_sbrr_dirReg ; -- Begin function fft_rtc_fwd_len1430_factors_13_11_10_wgs_143_tpt_143_dp_op_CI_CI_unitstride_sbrr_dirReg
	.globl	fft_rtc_fwd_len1430_factors_13_11_10_wgs_143_tpt_143_dp_op_CI_CI_unitstride_sbrr_dirReg
	.p2align	8
	.type	fft_rtc_fwd_len1430_factors_13_11_10_wgs_143_tpt_143_dp_op_CI_CI_unitstride_sbrr_dirReg,@function
fft_rtc_fwd_len1430_factors_13_11_10_wgs_143_tpt_143_dp_op_CI_CI_unitstride_sbrr_dirReg: ; @fft_rtc_fwd_len1430_factors_13_11_10_wgs_143_tpt_143_dp_op_CI_CI_unitstride_sbrr_dirReg
; %bb.0:
	s_clause 0x2
	s_load_b128 s[8:11], s[0:1], 0x0
	s_load_b128 s[4:7], s[0:1], 0x58
	;; [unrolled: 1-line block ×3, first 2 shown]
	v_mul_u32_u24_e32 v1, 0x1cb, v0
	v_mov_b32_e32 v52, 0
	v_mov_b32_e32 v53, 0
	s_delay_alu instid0(VALU_DEP_3) | instskip(SKIP_1) | instid1(VALU_DEP_1)
	v_lshrrev_b32_e32 v2, 16, v1
	v_mov_b32_e32 v1, 0
	v_dual_mov_b32 v4, v1 :: v_dual_add_nc_u32 v3, s15, v2
	s_waitcnt lgkmcnt(0)
	v_cmp_lt_u64_e64 s2, s[10:11], 2
	s_delay_alu instid0(VALU_DEP_1)
	s_and_b32 vcc_lo, exec_lo, s2
	s_cbranch_vccnz .LBB0_8
; %bb.1:
	s_load_b64 s[2:3], s[0:1], 0x10
	v_mov_b32_e32 v52, 0
	v_mov_b32_e32 v53, 0
	s_add_u32 s12, s18, 8
	s_addc_u32 s13, s19, 0
	s_add_u32 s14, s16, 8
	s_addc_u32 s15, s17, 0
	v_dual_mov_b32 v81, v53 :: v_dual_mov_b32 v80, v52
	s_mov_b64 s[22:23], 1
	s_waitcnt lgkmcnt(0)
	s_add_u32 s20, s2, 8
	s_addc_u32 s21, s3, 0
.LBB0_2:                                ; =>This Inner Loop Header: Depth=1
	s_load_b64 s[24:25], s[20:21], 0x0
                                        ; implicit-def: $vgpr82_vgpr83
	s_mov_b32 s2, exec_lo
	s_waitcnt lgkmcnt(0)
	v_or_b32_e32 v2, s25, v4
	s_delay_alu instid0(VALU_DEP_1)
	v_cmpx_ne_u64_e32 0, v[1:2]
	s_xor_b32 s3, exec_lo, s2
	s_cbranch_execz .LBB0_4
; %bb.3:                                ;   in Loop: Header=BB0_2 Depth=1
	v_cvt_f32_u32_e32 v2, s24
	v_cvt_f32_u32_e32 v5, s25
	s_sub_u32 s2, 0, s24
	s_subb_u32 s26, 0, s25
	s_delay_alu instid0(VALU_DEP_1) | instskip(NEXT) | instid1(VALU_DEP_1)
	v_fmac_f32_e32 v2, 0x4f800000, v5
	v_rcp_f32_e32 v2, v2
	s_waitcnt_depctr 0xfff
	v_mul_f32_e32 v2, 0x5f7ffffc, v2
	s_delay_alu instid0(VALU_DEP_1) | instskip(NEXT) | instid1(VALU_DEP_1)
	v_mul_f32_e32 v5, 0x2f800000, v2
	v_trunc_f32_e32 v5, v5
	s_delay_alu instid0(VALU_DEP_1) | instskip(SKIP_1) | instid1(VALU_DEP_2)
	v_fmac_f32_e32 v2, 0xcf800000, v5
	v_cvt_u32_f32_e32 v5, v5
	v_cvt_u32_f32_e32 v2, v2
	s_delay_alu instid0(VALU_DEP_2) | instskip(NEXT) | instid1(VALU_DEP_2)
	v_mul_lo_u32 v6, s2, v5
	v_mul_hi_u32 v7, s2, v2
	v_mul_lo_u32 v8, s26, v2
	s_delay_alu instid0(VALU_DEP_2) | instskip(SKIP_1) | instid1(VALU_DEP_2)
	v_add_nc_u32_e32 v6, v7, v6
	v_mul_lo_u32 v7, s2, v2
	v_add_nc_u32_e32 v6, v6, v8
	s_delay_alu instid0(VALU_DEP_2) | instskip(NEXT) | instid1(VALU_DEP_2)
	v_mul_hi_u32 v8, v2, v7
	v_mul_lo_u32 v9, v2, v6
	v_mul_hi_u32 v10, v2, v6
	v_mul_hi_u32 v11, v5, v7
	v_mul_lo_u32 v7, v5, v7
	v_mul_hi_u32 v12, v5, v6
	v_mul_lo_u32 v6, v5, v6
	v_add_co_u32 v8, vcc_lo, v8, v9
	v_add_co_ci_u32_e32 v9, vcc_lo, 0, v10, vcc_lo
	s_delay_alu instid0(VALU_DEP_2) | instskip(NEXT) | instid1(VALU_DEP_2)
	v_add_co_u32 v7, vcc_lo, v8, v7
	v_add_co_ci_u32_e32 v7, vcc_lo, v9, v11, vcc_lo
	v_add_co_ci_u32_e32 v8, vcc_lo, 0, v12, vcc_lo
	s_delay_alu instid0(VALU_DEP_2) | instskip(NEXT) | instid1(VALU_DEP_2)
	v_add_co_u32 v6, vcc_lo, v7, v6
	v_add_co_ci_u32_e32 v7, vcc_lo, 0, v8, vcc_lo
	s_delay_alu instid0(VALU_DEP_2) | instskip(NEXT) | instid1(VALU_DEP_2)
	v_add_co_u32 v2, vcc_lo, v2, v6
	v_add_co_ci_u32_e32 v5, vcc_lo, v5, v7, vcc_lo
	s_delay_alu instid0(VALU_DEP_2) | instskip(SKIP_1) | instid1(VALU_DEP_3)
	v_mul_hi_u32 v6, s2, v2
	v_mul_lo_u32 v8, s26, v2
	v_mul_lo_u32 v7, s2, v5
	s_delay_alu instid0(VALU_DEP_1) | instskip(SKIP_1) | instid1(VALU_DEP_2)
	v_add_nc_u32_e32 v6, v6, v7
	v_mul_lo_u32 v7, s2, v2
	v_add_nc_u32_e32 v6, v6, v8
	s_delay_alu instid0(VALU_DEP_2) | instskip(NEXT) | instid1(VALU_DEP_2)
	v_mul_hi_u32 v8, v2, v7
	v_mul_lo_u32 v9, v2, v6
	v_mul_hi_u32 v10, v2, v6
	v_mul_hi_u32 v11, v5, v7
	v_mul_lo_u32 v7, v5, v7
	v_mul_hi_u32 v12, v5, v6
	v_mul_lo_u32 v6, v5, v6
	v_add_co_u32 v8, vcc_lo, v8, v9
	v_add_co_ci_u32_e32 v9, vcc_lo, 0, v10, vcc_lo
	s_delay_alu instid0(VALU_DEP_2) | instskip(NEXT) | instid1(VALU_DEP_2)
	v_add_co_u32 v7, vcc_lo, v8, v7
	v_add_co_ci_u32_e32 v7, vcc_lo, v9, v11, vcc_lo
	v_add_co_ci_u32_e32 v8, vcc_lo, 0, v12, vcc_lo
	s_delay_alu instid0(VALU_DEP_2) | instskip(NEXT) | instid1(VALU_DEP_2)
	v_add_co_u32 v6, vcc_lo, v7, v6
	v_add_co_ci_u32_e32 v7, vcc_lo, 0, v8, vcc_lo
	s_delay_alu instid0(VALU_DEP_2) | instskip(NEXT) | instid1(VALU_DEP_2)
	v_add_co_u32 v2, vcc_lo, v2, v6
	v_add_co_ci_u32_e32 v11, vcc_lo, v5, v7, vcc_lo
	s_delay_alu instid0(VALU_DEP_2) | instskip(SKIP_1) | instid1(VALU_DEP_3)
	v_mul_hi_u32 v12, v3, v2
	v_mad_u64_u32 v[7:8], null, v4, v2, 0
	v_mad_u64_u32 v[5:6], null, v3, v11, 0
	;; [unrolled: 1-line block ×3, first 2 shown]
	s_delay_alu instid0(VALU_DEP_2) | instskip(NEXT) | instid1(VALU_DEP_3)
	v_add_co_u32 v2, vcc_lo, v12, v5
	v_add_co_ci_u32_e32 v5, vcc_lo, 0, v6, vcc_lo
	s_delay_alu instid0(VALU_DEP_2) | instskip(NEXT) | instid1(VALU_DEP_2)
	v_add_co_u32 v2, vcc_lo, v2, v7
	v_add_co_ci_u32_e32 v2, vcc_lo, v5, v8, vcc_lo
	v_add_co_ci_u32_e32 v5, vcc_lo, 0, v10, vcc_lo
	s_delay_alu instid0(VALU_DEP_2) | instskip(NEXT) | instid1(VALU_DEP_2)
	v_add_co_u32 v2, vcc_lo, v2, v9
	v_add_co_ci_u32_e32 v7, vcc_lo, 0, v5, vcc_lo
	s_delay_alu instid0(VALU_DEP_2) | instskip(SKIP_1) | instid1(VALU_DEP_3)
	v_mul_lo_u32 v8, s25, v2
	v_mad_u64_u32 v[5:6], null, s24, v2, 0
	v_mul_lo_u32 v9, s24, v7
	s_delay_alu instid0(VALU_DEP_2) | instskip(NEXT) | instid1(VALU_DEP_2)
	v_sub_co_u32 v5, vcc_lo, v3, v5
	v_add3_u32 v6, v6, v9, v8
	s_delay_alu instid0(VALU_DEP_1) | instskip(NEXT) | instid1(VALU_DEP_1)
	v_sub_nc_u32_e32 v8, v4, v6
	v_subrev_co_ci_u32_e64 v8, s2, s25, v8, vcc_lo
	v_add_co_u32 v9, s2, v2, 2
	s_delay_alu instid0(VALU_DEP_1) | instskip(SKIP_3) | instid1(VALU_DEP_3)
	v_add_co_ci_u32_e64 v10, s2, 0, v7, s2
	v_sub_co_u32 v11, s2, v5, s24
	v_sub_co_ci_u32_e32 v6, vcc_lo, v4, v6, vcc_lo
	v_subrev_co_ci_u32_e64 v8, s2, 0, v8, s2
	v_cmp_le_u32_e32 vcc_lo, s24, v11
	s_delay_alu instid0(VALU_DEP_3) | instskip(SKIP_1) | instid1(VALU_DEP_4)
	v_cmp_eq_u32_e64 s2, s25, v6
	v_cndmask_b32_e64 v11, 0, -1, vcc_lo
	v_cmp_le_u32_e32 vcc_lo, s25, v8
	v_cndmask_b32_e64 v12, 0, -1, vcc_lo
	v_cmp_le_u32_e32 vcc_lo, s24, v5
	;; [unrolled: 2-line block ×3, first 2 shown]
	v_cndmask_b32_e64 v13, 0, -1, vcc_lo
	v_cmp_eq_u32_e32 vcc_lo, s25, v8
	s_delay_alu instid0(VALU_DEP_2) | instskip(SKIP_3) | instid1(VALU_DEP_3)
	v_cndmask_b32_e64 v5, v13, v5, s2
	v_cndmask_b32_e32 v8, v12, v11, vcc_lo
	v_add_co_u32 v11, vcc_lo, v2, 1
	v_add_co_ci_u32_e32 v12, vcc_lo, 0, v7, vcc_lo
	v_cmp_ne_u32_e32 vcc_lo, 0, v8
	s_delay_alu instid0(VALU_DEP_2) | instskip(NEXT) | instid1(VALU_DEP_4)
	v_cndmask_b32_e32 v6, v12, v10, vcc_lo
	v_cndmask_b32_e32 v8, v11, v9, vcc_lo
	v_cmp_ne_u32_e32 vcc_lo, 0, v5
	s_delay_alu instid0(VALU_DEP_2)
	v_dual_cndmask_b32 v83, v7, v6 :: v_dual_cndmask_b32 v82, v2, v8
.LBB0_4:                                ;   in Loop: Header=BB0_2 Depth=1
	s_and_not1_saveexec_b32 s2, s3
	s_cbranch_execz .LBB0_6
; %bb.5:                                ;   in Loop: Header=BB0_2 Depth=1
	v_cvt_f32_u32_e32 v2, s24
	s_sub_i32 s3, 0, s24
	v_mov_b32_e32 v83, v1
	s_delay_alu instid0(VALU_DEP_2) | instskip(SKIP_2) | instid1(VALU_DEP_1)
	v_rcp_iflag_f32_e32 v2, v2
	s_waitcnt_depctr 0xfff
	v_mul_f32_e32 v2, 0x4f7ffffe, v2
	v_cvt_u32_f32_e32 v2, v2
	s_delay_alu instid0(VALU_DEP_1) | instskip(NEXT) | instid1(VALU_DEP_1)
	v_mul_lo_u32 v5, s3, v2
	v_mul_hi_u32 v5, v2, v5
	s_delay_alu instid0(VALU_DEP_1) | instskip(NEXT) | instid1(VALU_DEP_1)
	v_add_nc_u32_e32 v2, v2, v5
	v_mul_hi_u32 v2, v3, v2
	s_delay_alu instid0(VALU_DEP_1) | instskip(SKIP_1) | instid1(VALU_DEP_2)
	v_mul_lo_u32 v5, v2, s24
	v_add_nc_u32_e32 v6, 1, v2
	v_sub_nc_u32_e32 v5, v3, v5
	s_delay_alu instid0(VALU_DEP_1) | instskip(SKIP_1) | instid1(VALU_DEP_2)
	v_subrev_nc_u32_e32 v7, s24, v5
	v_cmp_le_u32_e32 vcc_lo, s24, v5
	v_dual_cndmask_b32 v5, v5, v7 :: v_dual_cndmask_b32 v2, v2, v6
	s_delay_alu instid0(VALU_DEP_1) | instskip(NEXT) | instid1(VALU_DEP_2)
	v_cmp_le_u32_e32 vcc_lo, s24, v5
	v_add_nc_u32_e32 v6, 1, v2
	s_delay_alu instid0(VALU_DEP_1)
	v_cndmask_b32_e32 v82, v2, v6, vcc_lo
.LBB0_6:                                ;   in Loop: Header=BB0_2 Depth=1
	s_or_b32 exec_lo, exec_lo, s2
	s_delay_alu instid0(VALU_DEP_1) | instskip(NEXT) | instid1(VALU_DEP_2)
	v_mul_lo_u32 v2, v83, s24
	v_mul_lo_u32 v7, v82, s25
	s_load_b64 s[2:3], s[14:15], 0x0
	v_mad_u64_u32 v[5:6], null, v82, s24, 0
	s_load_b64 s[24:25], s[12:13], 0x0
	s_add_u32 s22, s22, 1
	s_addc_u32 s23, s23, 0
	s_add_u32 s12, s12, 8
	s_addc_u32 s13, s13, 0
	s_add_u32 s14, s14, 8
	s_delay_alu instid0(VALU_DEP_1) | instskip(SKIP_3) | instid1(VALU_DEP_2)
	v_add3_u32 v2, v6, v7, v2
	v_sub_co_u32 v6, vcc_lo, v3, v5
	s_addc_u32 s15, s15, 0
	s_add_u32 s20, s20, 8
	v_sub_co_ci_u32_e32 v4, vcc_lo, v4, v2, vcc_lo
	s_addc_u32 s21, s21, 0
	s_waitcnt lgkmcnt(0)
	s_delay_alu instid0(VALU_DEP_1)
	v_mul_lo_u32 v7, s2, v4
	v_mul_lo_u32 v8, s3, v6
	v_mad_u64_u32 v[2:3], null, s2, v6, v[52:53]
	v_mul_lo_u32 v9, s24, v4
	v_mul_lo_u32 v10, s25, v6
	v_mad_u64_u32 v[4:5], null, s24, v6, v[80:81]
	v_cmp_ge_u64_e64 s2, s[22:23], s[10:11]
	v_add3_u32 v53, v8, v3, v7
	v_mov_b32_e32 v52, v2
	s_delay_alu instid0(VALU_DEP_4)
	v_add3_u32 v81, v10, v5, v9
	v_mov_b32_e32 v80, v4
	s_and_b32 vcc_lo, exec_lo, s2
	s_cbranch_vccnz .LBB0_9
; %bb.7:                                ;   in Loop: Header=BB0_2 Depth=1
	v_dual_mov_b32 v3, v82 :: v_dual_mov_b32 v4, v83
	s_branch .LBB0_2
.LBB0_8:
	v_dual_mov_b32 v81, v53 :: v_dual_mov_b32 v80, v52
	v_dual_mov_b32 v83, v4 :: v_dual_mov_b32 v82, v3
.LBB0_9:
	s_load_b64 s[0:1], s[0:1], 0x28
	s_lshl_b64 s[10:11], s[10:11], 3
	v_mul_hi_u32 v1, 0x1ca4b31, v0
	s_add_u32 s2, s18, s10
	s_addc_u32 s3, s19, s11
	v_mov_b32_e32 v84, 0
	s_load_b64 s[2:3], s[2:3], 0x0
                                        ; implicit-def: $vgpr2_vgpr3
                                        ; implicit-def: $vgpr10_vgpr11
                                        ; implicit-def: $vgpr14_vgpr15
                                        ; implicit-def: $vgpr18_vgpr19
                                        ; implicit-def: $vgpr22_vgpr23
                                        ; implicit-def: $vgpr26_vgpr27
                                        ; implicit-def: $vgpr30_vgpr31
                                        ; implicit-def: $vgpr34_vgpr35
                                        ; implicit-def: $vgpr38_vgpr39
                                        ; implicit-def: $vgpr42_vgpr43
                                        ; implicit-def: $vgpr50_vgpr51
                                        ; implicit-def: $vgpr46_vgpr47
                                        ; implicit-def: $vgpr6_vgpr7
	s_delay_alu instid0(VALU_DEP_2) | instskip(NEXT) | instid1(VALU_DEP_1)
	v_mul_u32_u24_e32 v1, 0x8f, v1
	v_sub_nc_u32_e32 v85, v0, v1
	s_waitcnt lgkmcnt(0)
	v_cmp_gt_u64_e32 vcc_lo, s[0:1], v[82:83]
	s_and_saveexec_b32 s1, vcc_lo
	s_cbranch_execz .LBB0_13
; %bb.10:
	s_mov_b32 s12, exec_lo
                                        ; implicit-def: $vgpr4_vgpr5
                                        ; implicit-def: $vgpr44_vgpr45
                                        ; implicit-def: $vgpr48_vgpr49
                                        ; implicit-def: $vgpr40_vgpr41
                                        ; implicit-def: $vgpr36_vgpr37
                                        ; implicit-def: $vgpr32_vgpr33
                                        ; implicit-def: $vgpr28_vgpr29
                                        ; implicit-def: $vgpr24_vgpr25
                                        ; implicit-def: $vgpr20_vgpr21
                                        ; implicit-def: $vgpr16_vgpr17
                                        ; implicit-def: $vgpr12_vgpr13
                                        ; implicit-def: $vgpr8_vgpr9
                                        ; implicit-def: $vgpr0_vgpr1
	v_cmpx_gt_u32_e32 0x6e, v85
	s_cbranch_execz .LBB0_12
; %bb.11:
	s_add_u32 s10, s16, s10
	s_addc_u32 s11, s17, s11
	v_mov_b32_e32 v86, 0
	s_load_b64 s[10:11], s[10:11], 0x0
	s_waitcnt lgkmcnt(0)
	v_mul_lo_u32 v2, s11, v82
	v_mul_lo_u32 v3, s10, v83
	v_mad_u64_u32 v[0:1], null, s10, v82, 0
	s_delay_alu instid0(VALU_DEP_1) | instskip(SKIP_1) | instid1(VALU_DEP_2)
	v_add3_u32 v1, v1, v3, v2
	v_lshlrev_b64 v[2:3], 4, v[52:53]
	v_lshlrev_b64 v[0:1], 4, v[0:1]
	s_delay_alu instid0(VALU_DEP_1) | instskip(NEXT) | instid1(VALU_DEP_1)
	v_add_co_u32 v4, s0, s4, v0
	v_add_co_ci_u32_e64 v5, s0, s5, v1, s0
	v_lshlrev_b64 v[0:1], 4, v[85:86]
	s_delay_alu instid0(VALU_DEP_3) | instskip(NEXT) | instid1(VALU_DEP_1)
	v_add_co_u32 v2, s0, v4, v2
	v_add_co_ci_u32_e64 v3, s0, v5, v3, s0
	s_delay_alu instid0(VALU_DEP_2) | instskip(NEXT) | instid1(VALU_DEP_1)
	v_add_co_u32 v0, s0, v2, v0
	v_add_co_ci_u32_e64 v1, s0, v3, v1, s0
	s_clause 0x1
	global_load_b128 v[4:7], v[0:1], off
	global_load_b128 v[44:47], v[0:1], off offset:1760
	v_add_co_u32 v2, s0, 0x1000, v0
	s_delay_alu instid0(VALU_DEP_1) | instskip(SKIP_1) | instid1(VALU_DEP_1)
	v_add_co_ci_u32_e64 v3, s0, 0, v1, s0
	v_add_co_u32 v8, s0, 0x2000, v0
	v_add_co_ci_u32_e64 v9, s0, 0, v1, s0
	v_add_co_u32 v10, s0, 0x3000, v0
	s_delay_alu instid0(VALU_DEP_1) | instskip(SKIP_1) | instid1(VALU_DEP_1)
	v_add_co_ci_u32_e64 v11, s0, 0, v1, s0
	v_add_co_u32 v52, s0, 0x4000, v0
	v_add_co_ci_u32_e64 v53, s0, 0, v1, s0
	v_add_co_u32 v54, s0, 0x5000, v0
	s_delay_alu instid0(VALU_DEP_1)
	v_add_co_ci_u32_e64 v55, s0, 0, v1, s0
	s_clause 0xa
	global_load_b128 v[48:51], v[0:1], off offset:3520
	global_load_b128 v[40:43], v[2:3], off offset:1184
	;; [unrolled: 1-line block ×11, first 2 shown]
.LBB0_12:
	s_or_b32 exec_lo, exec_lo, s12
	v_mov_b32_e32 v84, v85
.LBB0_13:
	s_or_b32 exec_lo, exec_lo, s1
	s_waitcnt vmcnt(11)
	v_add_f64 v[52:53], v[44:45], v[4:5]
	v_add_f64 v[54:55], v[46:47], v[6:7]
	s_waitcnt vmcnt(0)
	v_add_f64 v[68:69], v[46:47], -v[2:3]
	v_add_f64 v[74:75], v[44:45], -v[0:1]
	s_mov_b32 s0, 0x4267c47c
	s_mov_b32 s12, 0x42a4c3d2
	;; [unrolled: 1-line block ×4, first 2 shown]
	v_add_f64 v[104:105], v[48:49], -v[8:9]
	v_add_f64 v[70:71], v[24:25], v[28:29]
	v_add_f64 v[72:73], v[26:27], v[30:31]
	s_mov_b32 s4, 0xe00740e9
	s_mov_b32 s10, 0x1ea71119
	;; [unrolled: 1-line block ×24, first 2 shown]
	v_add_f64 v[98:99], v[42:43], -v[14:15]
	v_add_f64 v[56:57], v[12:13], v[40:41]
	v_add_f64 v[58:59], v[14:15], v[42:43]
	;; [unrolled: 1-line block ×4, first 2 shown]
	v_mul_f64 v[102:103], v[68:69], s[12:13]
	v_add_f64 v[48:49], v[8:9], v[48:49]
	v_add_f64 v[64:65], v[20:21], v[32:33]
	;; [unrolled: 1-line block ×3, first 2 shown]
	v_mul_f64 v[108:109], v[74:75], s[12:13]
	v_mul_f64 v[136:137], v[74:75], s[30:31]
	v_mul_f64 v[96:97], v[104:105], s[12:13]
	s_mov_b32 s38, 0x4bc48dbf
	s_mov_b32 s39, 0x3fcea1e5
	;; [unrolled: 1-line block ×4, first 2 shown]
	v_add_f64 v[60:61], v[16:17], v[36:37]
	v_add_f64 v[62:63], v[18:19], v[38:39]
	v_mul_f64 v[112:113], v[104:105], s[26:27]
	v_mul_f64 v[116:117], v[104:105], s[36:37]
	;; [unrolled: 1-line block ×4, first 2 shown]
	s_mov_b32 s41, 0x3fddbe06
	s_mov_b32 s43, 0x3fea55e2
	;; [unrolled: 1-line block ×4, first 2 shown]
	v_mul_f64 v[104:105], v[104:105], s[40:41]
	v_mul_f64 v[90:91], v[98:99], s[18:19]
	;; [unrolled: 1-line block ×4, first 2 shown]
	v_add_f64 v[52:53], v[40:41], v[52:53]
	v_add_f64 v[54:55], v[42:43], v[54:55]
	v_mul_f64 v[42:43], v[74:75], s[18:19]
	v_mul_f64 v[114:115], v[48:49], s[24:25]
	;; [unrolled: 1-line block ×11, first 2 shown]
	v_fma_f64 v[176:177], v[98:99], s[26:27], v[118:119]
	v_fma_f64 v[118:119], v[98:99], s[28:29], v[118:119]
	v_add_f64 v[52:53], v[36:37], v[52:53]
	v_add_f64 v[54:55], v[38:39], v[54:55]
	v_add_f64 v[36:37], v[36:37], -v[16:17]
	v_add_f64 v[38:39], v[38:39], -v[18:19]
	v_fma_f64 v[186:187], v[98:99], s[0:1], v[134:135]
	v_fma_f64 v[134:135], v[98:99], s[40:41], v[134:135]
	v_add_f64 v[52:53], v[32:33], v[52:53]
	v_add_f64 v[54:55], v[34:35], v[54:55]
	v_add_f64 v[32:33], v[32:33], -v[20:21]
	v_add_f64 v[34:35], v[34:35], -v[22:23]
	v_mul_f64 v[86:87], v[38:39], s[26:27]
	v_mul_f64 v[88:89], v[36:37], s[26:27]
	v_add_f64 v[76:77], v[28:29], v[52:53]
	v_add_f64 v[78:79], v[30:31], v[54:55]
	;; [unrolled: 1-line block ×4, first 2 shown]
	v_add_f64 v[44:45], v[50:51], -v[10:11]
	v_add_f64 v[28:29], v[28:29], -v[24:25]
	;; [unrolled: 1-line block ×3, first 2 shown]
	v_add_f64 v[50:51], v[10:11], v[50:51]
	v_add_f64 v[46:47], v[40:41], -v[12:13]
	v_add_f64 v[24:25], v[24:25], v[76:77]
	v_add_f64 v[26:27], v[26:27], v[78:79]
	v_mul_f64 v[76:77], v[68:69], s[0:1]
	v_mul_f64 v[78:79], v[74:75], s[0:1]
	;; [unrolled: 1-line block ×6, first 2 shown]
	v_fma_f64 v[146:147], v[52:53], s[10:11], -v[102:103]
	v_mul_f64 v[150:151], v[52:53], s[24:25]
	v_fma_f64 v[152:153], v[54:55], s[10:11], v[108:109]
	v_fma_f64 v[164:165], v[54:55], s[16:17], v[42:43]
	v_fma_f64 v[42:43], v[54:55], s[16:17], -v[42:43]
	v_fma_f64 v[182:183], v[54:55], s[22:23], v[136:137]
	v_fma_f64 v[136:137], v[54:55], s[22:23], -v[136:137]
	v_mul_f64 v[92:93], v[46:47], s[18:19]
	v_mul_f64 v[110:111], v[46:47], s[36:37]
	;; [unrolled: 1-line block ×4, first 2 shown]
	v_fma_f64 v[168:169], v[50:51], s[20:21], v[112:113]
	v_fma_f64 v[172:173], v[44:45], s[38:39], v[114:115]
	;; [unrolled: 1-line block ×4, first 2 shown]
	v_fma_f64 v[116:117], v[50:51], s[24:25], -v[116:117]
	v_fma_f64 v[180:181], v[44:45], s[30:31], v[124:125]
	v_fma_f64 v[184:185], v[50:51], s[22:23], v[128:129]
	;; [unrolled: 1-line block ×3, first 2 shown]
	v_fma_f64 v[128:129], v[50:51], s[22:23], -v[128:129]
	v_add_f64 v[20:21], v[20:21], v[24:25]
	v_add_f64 v[22:23], v[22:23], v[26:27]
	v_mul_f64 v[24:25], v[52:53], s[20:21]
	v_mul_f64 v[26:27], v[74:75], s[26:27]
	v_fma_f64 v[126:127], v[52:53], s[4:5], -v[76:77]
	v_fma_f64 v[132:133], v[54:55], s[4:5], v[78:79]
	v_mul_f64 v[74:75], v[74:75], s[36:37]
	v_fma_f64 v[160:161], v[68:69], s[14:15], v[40:41]
	v_fma_f64 v[162:163], v[48:49], s[10:11], -v[94:95]
	v_fma_f64 v[40:41], v[68:69], s[18:19], v[40:41]
	v_fma_f64 v[166:167], v[48:49], s[20:21], -v[100:101]
	v_fma_f64 v[178:179], v[68:69], s[34:35], v[130:131]
	v_fma_f64 v[130:131], v[68:69], s[30:31], v[130:131]
	v_add_f64 v[146:147], v[4:5], v[146:147]
	v_fma_f64 v[188:189], v[68:69], s[38:39], v[150:151]
	v_add_f64 v[152:153], v[6:7], v[152:153]
	v_add_f64 v[164:165], v[6:7], v[164:165]
	;; [unrolled: 1-line block ×7, first 2 shown]
	v_fma_f64 v[20:21], v[50:51], s[10:11], v[96:97]
	v_fma_f64 v[22:23], v[68:69], s[28:29], v[24:25]
	;; [unrolled: 1-line block ×4, first 2 shown]
	v_fma_f64 v[26:27], v[54:55], s[20:21], -v[26:27]
	v_add_f64 v[126:127], v[4:5], v[126:127]
	v_add_f64 v[132:133], v[6:7], v[132:133]
	v_fma_f64 v[68:69], v[68:69], s[36:37], v[150:151]
	v_fma_f64 v[190:191], v[54:55], s[24:25], v[74:75]
	v_fma_f64 v[74:75], v[54:55], s[24:25], -v[74:75]
	v_add_f64 v[150:151], v[4:5], v[160:161]
	v_fma_f64 v[160:161], v[44:45], s[18:19], v[142:143]
	v_add_f64 v[40:41], v[4:5], v[40:41]
	v_add_f64 v[178:179], v[4:5], v[178:179]
	;; [unrolled: 1-line block ×4, first 2 shown]
	v_fma_f64 v[166:167], v[56:57], s[16:17], -v[90:91]
	v_add_f64 v[188:189], v[4:5], v[188:189]
	v_add_f64 v[152:153], v[168:169], v[152:153]
	v_fma_f64 v[168:169], v[50:51], s[4:5], v[104:105]
	v_fma_f64 v[104:105], v[50:51], s[4:5], -v[104:105]
	v_add_f64 v[164:165], v[174:175], v[164:165]
	v_fma_f64 v[174:175], v[56:57], s[24:25], -v[106:107]
	v_add_f64 v[42:43], v[116:117], v[42:43]
	v_fma_f64 v[116:117], v[58:59], s[20:21], v[120:121]
	v_add_f64 v[12:13], v[12:13], v[16:17]
	v_add_f64 v[14:15], v[14:15], v[18:19]
	v_fma_f64 v[16:17], v[98:99], s[42:43], v[148:149]
	v_add_f64 v[18:19], v[4:5], v[22:23]
	v_fma_f64 v[22:23], v[44:45], s[14:15], v[142:143]
	v_fma_f64 v[142:143], v[98:99], s[12:13], v[148:149]
	v_add_f64 v[148:149], v[6:7], v[170:171]
	v_fma_f64 v[170:171], v[44:45], s[0:1], v[156:157]
	;; [unrolled: 3-line block ×3, first 2 shown]
	v_fma_f64 v[158:159], v[98:99], s[30:31], v[158:159]
	v_add_f64 v[26:27], v[6:7], v[26:27]
	v_mul_f64 v[98:99], v[60:61], s[10:11]
	v_add_f64 v[126:127], v[162:163], v[126:127]
	v_mul_f64 v[162:163], v[46:47], s[12:13]
	v_add_f64 v[20:21], v[20:21], v[132:133]
	v_fma_f64 v[132:133], v[50:51], s[16:17], v[144:145]
	v_fma_f64 v[144:145], v[50:51], s[16:17], -v[144:145]
	v_add_f64 v[192:193], v[4:5], v[68:69]
	v_mul_f64 v[46:47], v[46:47], s[30:31]
	v_add_f64 v[190:191], v[6:7], v[190:191]
	v_add_f64 v[194:195], v[6:7], v[74:75]
	;; [unrolled: 1-line block ×3, first 2 shown]
	v_fma_f64 v[172:173], v[58:59], s[16:17], v[92:93]
	v_add_f64 v[40:41], v[114:115], v[40:41]
	v_fma_f64 v[114:115], v[58:59], s[24:25], v[110:111]
	v_mul_f64 v[68:69], v[38:39], s[34:35]
	v_mul_f64 v[74:75], v[36:37], s[34:35]
	v_add_f64 v[146:147], v[174:175], v[146:147]
	v_mul_f64 v[174:175], v[36:37], s[38:39]
	v_add_f64 v[164:165], v[116:117], v[164:165]
	;; [unrolled: 2-line block ×3, first 2 shown]
	v_fma_f64 v[180:181], v[38:39], s[0:1], v[122:123]
	v_fma_f64 v[122:123], v[38:39], s[40:41], v[122:123]
	v_add_f64 v[148:149], v[184:185], v[148:149]
	v_fma_f64 v[184:185], v[38:39], s[14:15], v[140:141]
	v_fma_f64 v[140:141], v[38:39], s[18:19], v[140:141]
	v_add_f64 v[24:25], v[124:125], v[24:25]
	;; [unrolled: 3-line block ×3, first 2 shown]
	v_fma_f64 v[128:129], v[38:39], s[12:13], v[98:99]
	v_fma_f64 v[196:197], v[38:39], s[42:43], v[98:99]
	v_fma_f64 v[38:39], v[58:59], s[20:21], -v[120:121]
	v_add_f64 v[120:121], v[160:161], v[178:179]
	v_add_f64 v[132:133], v[132:133], v[182:183]
	v_fma_f64 v[160:161], v[58:59], s[4:5], v[138:139]
	v_add_f64 v[22:23], v[22:23], v[130:131]
	v_mul_f64 v[130:131], v[36:37], s[40:41]
	v_add_f64 v[136:137], v[144:145], v[136:137]
	v_mul_f64 v[144:145], v[64:65], s[10:11]
	v_fma_f64 v[138:139], v[58:59], s[4:5], -v[138:139]
	v_add_f64 v[170:171], v[170:171], v[188:189]
	v_mul_f64 v[178:179], v[64:65], s[24:25]
	v_mul_f64 v[182:183], v[64:65], s[4:5]
	v_add_f64 v[44:45], v[44:45], v[192:193]
	v_fma_f64 v[188:189], v[58:59], s[10:11], v[162:163]
	v_mul_f64 v[192:193], v[64:65], s[20:21]
	v_add_f64 v[126:127], v[166:167], v[126:127]
	v_mul_f64 v[166:167], v[36:37], s[18:19]
	v_add_f64 v[168:169], v[168:169], v[190:191]
	v_add_f64 v[190:191], v[104:105], v[194:195]
	v_fma_f64 v[162:163], v[58:59], s[10:11], -v[162:163]
	v_add_f64 v[20:21], v[172:173], v[20:21]
	v_mul_f64 v[98:99], v[34:35], s[30:31]
	v_fma_f64 v[172:173], v[58:59], s[22:23], v[46:47]
	v_add_f64 v[152:153], v[114:115], v[152:153]
	v_fma_f64 v[46:47], v[58:59], s[22:23], -v[46:47]
	v_add_f64 v[150:151], v[176:177], v[150:151]
	v_mul_f64 v[104:105], v[32:33], s[30:31]
	v_fma_f64 v[176:177], v[60:61], s[20:21], -v[86:87]
	v_mul_f64 v[36:37], v[36:37], s[42:43]
	v_add_f64 v[40:41], v[118:119], v[40:41]
	v_fma_f64 v[118:119], v[62:63], s[20:21], v[88:89]
	v_add_f64 v[18:19], v[186:187], v[18:19]
	v_fma_f64 v[186:187], v[62:63], s[22:23], v[74:75]
	v_add_f64 v[24:25], v[134:135], v[24:25]
	v_mul_f64 v[114:115], v[34:35], s[14:15]
	v_add_f64 v[38:39], v[38:39], v[42:43]
	v_fma_f64 v[42:43], v[60:61], s[22:23], -v[68:69]
	v_add_f64 v[16:17], v[16:17], v[120:121]
	v_add_f64 v[148:149], v[160:161], v[148:149]
	;; [unrolled: 1-line block ×3, first 2 shown]
	v_fma_f64 v[160:161], v[62:63], s[4:5], v[130:131]
	v_fma_f64 v[130:131], v[62:63], s[4:5], -v[130:131]
	v_fma_f64 v[134:135], v[34:35], s[42:43], v[144:145]
	v_fma_f64 v[144:145], v[34:35], s[12:13], v[144:145]
	v_add_f64 v[26:27], v[138:139], v[26:27]
	v_fma_f64 v[138:139], v[34:35], s[36:37], v[178:179]
	v_fma_f64 v[178:179], v[34:35], s[38:39], v[178:179]
	;; [unrolled: 1-line block ×4, first 2 shown]
	v_add_f64 v[132:133], v[188:189], v[132:133]
	v_fma_f64 v[188:189], v[34:35], s[28:29], v[192:193]
	v_fma_f64 v[192:193], v[34:35], s[26:27], v[192:193]
	;; [unrolled: 1-line block ×3, first 2 shown]
	v_fma_f64 v[142:143], v[62:63], s[16:17], -v[166:167]
	v_add_f64 v[136:137], v[162:163], v[136:137]
	v_add_f64 v[156:157], v[156:157], v[170:171]
	v_mul_f64 v[162:163], v[70:71], s[22:23]
	v_add_f64 v[166:167], v[172:173], v[168:169]
	v_mul_f64 v[168:169], v[70:71], s[10:11]
	v_add_f64 v[44:45], v[158:159], v[44:45]
	v_fma_f64 v[158:159], v[62:63], s[24:25], v[174:175]
	v_add_f64 v[46:47], v[46:47], v[190:191]
	v_mul_f64 v[170:171], v[70:71], s[20:21]
	v_add_f64 v[126:127], v[176:177], v[126:127]
	v_mul_f64 v[172:173], v[70:71], s[16:17]
	v_fma_f64 v[174:175], v[62:63], s[24:25], -v[174:175]
	v_add_f64 v[20:21], v[118:119], v[20:21]
	v_mul_f64 v[176:177], v[32:33], s[12:13]
	v_add_f64 v[152:153], v[186:187], v[152:153]
	v_mul_f64 v[186:187], v[32:33], s[38:39]
	v_add_f64 v[150:151], v[180:181], v[150:151]
	v_fma_f64 v[180:181], v[64:65], s[22:23], -v[98:99]
	v_mul_f64 v[118:119], v[30:31], s[36:37]
	v_add_f64 v[40:41], v[122:123], v[40:41]
	v_add_f64 v[42:43], v[42:43], v[146:147]
	v_fma_f64 v[146:147], v[62:63], s[10:11], v[36:37]
	v_fma_f64 v[36:37], v[62:63], s[10:11], -v[36:37]
	v_mul_f64 v[120:121], v[28:29], s[36:37]
	v_add_f64 v[160:161], v[160:161], v[164:165]
	v_add_f64 v[38:39], v[130:131], v[38:39]
	v_fma_f64 v[130:131], v[66:67], s[22:23], v[104:105]
	v_mul_f64 v[164:165], v[32:33], s[40:41]
	v_mul_f64 v[32:33], v[32:33], s[26:27]
	v_add_f64 v[18:19], v[184:185], v[18:19]
	v_add_f64 v[24:25], v[140:141], v[24:25]
	v_fma_f64 v[140:141], v[66:67], s[16:17], v[116:117]
	v_add_f64 v[16:17], v[124:125], v[16:17]
	v_add_f64 v[22:23], v[154:155], v[22:23]
	v_mul_f64 v[122:123], v[30:31], s[40:41]
	v_mul_f64 v[124:125], v[28:29], s[40:41]
	v_add_f64 v[34:35], v[34:35], v[148:149]
	v_fma_f64 v[148:149], v[64:65], s[16:17], -v[114:115]
	v_add_f64 v[26:27], v[142:143], v[26:27]
	v_add_f64 v[128:129], v[128:129], v[156:157]
	v_fma_f64 v[142:143], v[30:31], s[34:35], v[162:163]
	v_fma_f64 v[162:163], v[30:31], s[30:31], v[162:163]
	;; [unrolled: 1-line block ×4, first 2 shown]
	v_add_f64 v[132:133], v[158:159], v[132:133]
	v_add_f64 v[44:45], v[196:197], v[44:45]
	v_fma_f64 v[158:159], v[30:31], s[28:29], v[170:171]
	v_fma_f64 v[170:171], v[30:31], s[26:27], v[170:171]
	;; [unrolled: 1-line block ×4, first 2 shown]
	v_add_f64 v[30:31], v[174:175], v[136:137]
	v_fma_f64 v[136:137], v[66:67], s[10:11], v[176:177]
	v_fma_f64 v[156:157], v[66:67], s[10:11], -v[176:177]
	v_mul_f64 v[174:175], v[28:29], s[42:43]
	v_mul_f64 v[176:177], v[28:29], s[26:27]
	v_add_f64 v[126:127], v[180:181], v[126:127]
	v_fma_f64 v[180:181], v[66:67], s[24:25], -v[186:187]
	v_add_f64 v[134:135], v[134:135], v[150:151]
	v_add_f64 v[40:41], v[144:145], v[40:41]
	v_add_f64 v[146:147], v[146:147], v[166:167]
	v_mul_f64 v[166:167], v[28:29], s[30:31]
	v_add_f64 v[36:37], v[36:37], v[46:47]
	v_fma_f64 v[46:47], v[66:67], s[24:25], v[186:187]
	v_mul_f64 v[28:29], v[28:29], s[14:15]
	v_add_f64 v[20:21], v[130:131], v[20:21]
	v_fma_f64 v[130:131], v[66:67], s[4:5], v[164:165]
	v_fma_f64 v[164:165], v[66:67], s[4:5], -v[164:165]
	v_fma_f64 v[150:151], v[72:73], s[24:25], v[120:121]
	v_add_f64 v[138:139], v[138:139], v[18:19]
	v_add_f64 v[140:141], v[140:141], v[152:153]
	v_fma_f64 v[152:153], v[70:71], s[24:25], -v[118:119]
	v_add_f64 v[178:179], v[178:179], v[24:25]
	v_add_f64 v[22:23], v[182:183], v[22:23]
	v_fma_f64 v[144:145], v[72:73], s[4:5], v[124:125]
	s_mov_b32 s1, exec_lo
	v_add_f64 v[42:43], v[148:149], v[42:43]
	v_fma_f64 v[148:149], v[66:67], s[20:21], v[32:33]
	v_fma_f64 v[32:33], v[66:67], s[20:21], -v[32:33]
	v_add_f64 v[128:129], v[188:189], v[128:129]
	v_add_f64 v[136:137], v[136:137], v[160:161]
	v_fma_f64 v[160:161], v[70:71], s[4:5], -v[122:123]
	v_add_f64 v[38:39], v[156:157], v[38:39]
	v_fma_f64 v[186:187], v[72:73], s[10:11], v[174:175]
	v_fma_f64 v[174:175], v[72:73], s[10:11], -v[174:175]
	v_fma_f64 v[190:191], v[72:73], s[20:21], v[176:177]
	v_fma_f64 v[176:177], v[72:73], s[20:21], -v[176:177]
	v_add_f64 v[24:25], v[142:143], v[134:135]
	v_add_f64 v[40:41], v[162:163], v[40:41]
	v_fma_f64 v[156:157], v[72:73], s[22:23], v[166:167]
	v_fma_f64 v[166:167], v[72:73], s[22:23], -v[166:167]
	v_add_f64 v[34:35], v[46:47], v[34:35]
	v_fma_f64 v[196:197], v[72:73], s[16:17], v[28:29]
	v_fma_f64 v[198:199], v[72:73], s[16:17], -v[28:29]
	v_add_f64 v[28:29], v[180:181], v[26:27]
	v_add_f64 v[180:181], v[194:195], v[16:17]
	;; [unrolled: 1-line block ×29, first 2 shown]
	v_cmpx_gt_u32_e32 0x6e, v85
	s_cbranch_execz .LBB0_15
; %bb.14:
	v_mul_f64 v[126:127], v[54:55], s[10:11]
	v_mul_f64 v[128:129], v[52:53], s[10:11]
	;; [unrolled: 1-line block ×8, first 2 shown]
	v_add_f64 v[108:109], v[126:127], -v[108:109]
	v_add_f64 v[102:103], v[102:103], v[128:129]
	v_add_f64 v[54:55], v[54:55], -v[78:79]
	v_add_f64 v[52:53], v[76:77], v[52:53]
	v_mul_f64 v[76:77], v[56:57], s[16:17]
	v_mul_f64 v[78:79], v[58:59], s[16:17]
	;; [unrolled: 1-line block ×4, first 2 shown]
	v_add_f64 v[112:113], v[130:131], -v[112:113]
	v_add_f64 v[100:101], v[100:101], v[132:133]
	v_add_f64 v[50:51], v[50:51], -v[96:97]
	v_add_f64 v[48:49], v[94:95], v[48:49]
	v_add_f64 v[94:95], v[6:7], v[108:109]
	;; [unrolled: 1-line block ×5, first 2 shown]
	v_mul_f64 v[52:53], v[60:61], s[20:21]
	v_mul_f64 v[54:55], v[62:63], s[20:21]
	v_mul_f64 v[60:61], v[60:61], s[22:23]
	v_mul_f64 v[62:63], v[62:63], s[22:23]
	v_add_f64 v[58:59], v[58:59], -v[110:111]
	v_add_f64 v[56:57], v[106:107], v[56:57]
	v_add_f64 v[78:79], v[78:79], -v[92:93]
	v_add_f64 v[76:77], v[90:91], v[76:77]
	v_add_f64 v[90:91], v[112:113], v[94:95]
	;; [unrolled: 1-line block ×5, first 2 shown]
	v_mul_f64 v[48:49], v[64:65], s[22:23]
	v_mul_f64 v[50:51], v[66:67], s[22:23]
	;; [unrolled: 1-line block ×4, first 2 shown]
	v_add_f64 v[62:63], v[62:63], -v[74:75]
	v_add_f64 v[60:61], v[68:69], v[60:61]
	v_add_f64 v[54:55], v[54:55], -v[88:89]
	v_add_f64 v[52:53], v[86:87], v[52:53]
	v_mul_f64 v[68:69], v[70:71], s[24:25]
	v_mul_f64 v[74:75], v[72:73], s[24:25]
	;; [unrolled: 1-line block ×4, first 2 shown]
	v_add_f64 v[58:59], v[58:59], v[90:91]
	v_add_f64 v[56:57], v[56:57], v[92:93]
	;; [unrolled: 1-line block ×5, first 2 shown]
	v_add_f64 v[50:51], v[50:51], -v[104:105]
	v_add_f64 v[64:65], v[114:115], v[64:65]
	v_add_f64 v[66:67], v[66:67], -v[116:117]
	v_add_f64 v[58:59], v[62:63], v[58:59]
	v_add_f64 v[56:57], v[60:61], v[56:57]
	;; [unrolled: 1-line block ×4, first 2 shown]
	v_add_f64 v[52:53], v[72:73], -v[124:125]
	v_add_f64 v[54:55], v[122:123], v[70:71]
	v_add_f64 v[60:61], v[74:75], -v[120:121]
	v_add_f64 v[62:63], v[118:119], v[68:69]
	v_add_f64 v[58:59], v[66:67], v[58:59]
	;; [unrolled: 1-line block ×5, first 2 shown]
	s_delay_alu instid0(VALU_DEP_4) | instskip(NEXT) | instid1(VALU_DEP_4)
	v_add_f64 v[6:7], v[52:53], v[58:59]
	v_add_f64 v[4:5], v[54:55], v[56:57]
	s_delay_alu instid0(VALU_DEP_4) | instskip(NEXT) | instid1(VALU_DEP_4)
	v_add_f64 v[50:51], v[60:61], v[50:51]
	v_add_f64 v[48:49], v[62:63], v[48:49]
	v_mad_u32_u24 v52, 0xd0, v85, 0
	ds_store_b128 v52, v[0:3]
	ds_store_b128 v52, v[44:47] offset:16
	ds_store_b128 v52, v[16:19] offset:32
	;; [unrolled: 1-line block ×12, first 2 shown]
.LBB0_15:
	s_or_b32 exec_lo, exec_lo, s1
	v_cmp_gt_u32_e64 s0, 0x82, v85
	v_lshl_add_u32 v86, v85, 4, 0
	s_waitcnt lgkmcnt(0)
	s_barrier
	buffer_gl0_inv
	s_and_saveexec_b32 s1, s0
	s_cbranch_execz .LBB0_17
; %bb.16:
	ds_load_b128 v[0:3], v86
	ds_load_b128 v[44:47], v86 offset:2080
	ds_load_b128 v[16:19], v86 offset:4160
	;; [unrolled: 1-line block ×10, first 2 shown]
.LBB0_17:
	s_or_b32 exec_lo, exec_lo, s1
	s_waitcnt lgkmcnt(0)
	s_barrier
	buffer_gl0_inv
	s_and_saveexec_b32 s33, s0
	s_cbranch_execz .LBB0_19
; %bb.18:
	v_and_b32_e32 v4, 0xff, v85
	s_mov_b32 s4, 0xd9c712b6
	s_mov_b32 s10, 0x8eee2c13
	;; [unrolled: 1-line block ×4, first 2 shown]
	v_mul_lo_u16 v4, 0x4f, v4
	s_mov_b32 s22, 0xfd768dbf
	s_mov_b32 s14, 0x640f44db
	;; [unrolled: 1-line block ×4, first 2 shown]
	v_lshrrev_b16 v87, 10, v4
	s_mov_b32 s11, 0xbfed1bb4
	s_mov_b32 s0, 0x7f775887
	;; [unrolled: 1-line block ×4, first 2 shown]
	v_mul_lo_u16 v4, v87, 13
	s_mov_b32 s23, 0x3fd207e7
	s_mov_b32 s31, 0xbfe82f19
	;; [unrolled: 1-line block ×4, first 2 shown]
	v_sub_nc_u16 v4, v85, v4
	s_mov_b32 s26, s22
	s_mov_b32 s15, 0xbfc2375f
	;; [unrolled: 1-line block ×4, first 2 shown]
	v_and_b32_e32 v88, 0xff, v4
	s_mov_b32 s37, 0xbfefac9e
	s_mov_b32 s36, s16
	;; [unrolled: 1-line block ×4, first 2 shown]
	v_mul_u32_u24_e32 v4, 10, v88
	s_mov_b32 s19, 0x3feaeb8c
	s_mov_b32 s25, 0xbfe14ced
	;; [unrolled: 1-line block ×4, first 2 shown]
	v_lshlrev_b32_e32 v52, 4, v4
	s_mov_b32 s34, s10
	s_mov_b32 s28, s24
	s_clause 0x9
	global_load_b128 v[89:92], v52, s[8:9]
	global_load_b128 v[4:7], v52, s[8:9] offset:32
	global_load_b128 v[48:51], v52, s[8:9] offset:112
	;; [unrolled: 1-line block ×9, first 2 shown]
	s_waitcnt vmcnt(9)
	v_mul_f64 v[93:94], v[44:45], v[91:92]
	v_mul_f64 v[91:92], v[46:47], v[91:92]
	s_waitcnt vmcnt(8)
	v_mul_f64 v[95:96], v[24:25], v[6:7]
	s_waitcnt vmcnt(7)
	;; [unrolled: 2-line block ×5, first 2 shown]
	v_mul_f64 v[103:104], v[40:41], v[74:75]
	v_mul_f64 v[70:71], v[18:19], v[70:71]
	;; [unrolled: 1-line block ×5, first 2 shown]
	s_waitcnt vmcnt(1)
	v_mul_f64 v[105:106], v[12:13], v[58:59]
	s_waitcnt vmcnt(0)
	v_mul_f64 v[107:108], v[20:21], v[54:55]
	v_mul_f64 v[58:59], v[14:15], v[58:59]
	;; [unrolled: 1-line block ×3, first 2 shown]
	v_fma_f64 v[46:47], v[46:47], v[89:90], v[93:94]
	v_fma_f64 v[44:45], v[44:45], v[89:90], -v[91:92]
	v_mul_f64 v[89:90], v[26:27], v[6:7]
	v_fma_f64 v[95:96], v[26:27], v[4:5], v[95:96]
	v_fma_f64 v[26:27], v[34:35], v[48:49], v[97:98]
	;; [unrolled: 1-line block ×5, first 2 shown]
	v_fma_f64 v[38:39], v[16:17], v[68:69], -v[70:71]
	v_mul_f64 v[91:92], v[8:9], v[62:63]
	v_mul_f64 v[93:94], v[28:29], v[66:67]
	;; [unrolled: 1-line block ×4, first 2 shown]
	v_fma_f64 v[16:17], v[36:37], v[76:77], -v[78:79]
	v_fma_f64 v[14:15], v[14:15], v[56:57], v[105:106]
	v_fma_f64 v[22:23], v[22:23], v[52:53], v[107:108]
	v_fma_f64 v[12:13], v[12:13], v[56:57], -v[58:59]
	v_fma_f64 v[20:21], v[20:21], v[52:53], -v[54:55]
	v_add_f64 v[42:43], v[2:3], v[46:47]
	v_add_f64 v[68:69], v[0:1], v[44:45]
	v_fma_f64 v[70:71], v[24:25], v[4:5], -v[89:90]
	v_fma_f64 v[24:25], v[32:33], v[48:49], -v[50:51]
	;; [unrolled: 1-line block ×3, first 2 shown]
	v_add_f64 v[32:33], v[95:96], v[26:27]
	v_add_f64 v[36:37], v[34:35], v[18:19]
	v_add_f64 v[50:51], v[34:35], -v[18:19]
	v_add_f64 v[40:41], v[46:47], v[6:7]
	v_add_f64 v[46:47], v[46:47], -v[6:7]
	v_fma_f64 v[10:11], v[10:11], v[60:61], v[91:92]
	v_fma_f64 v[30:31], v[30:31], v[64:65], v[93:94]
	v_fma_f64 v[8:9], v[8:9], v[60:61], -v[62:63]
	v_fma_f64 v[28:29], v[28:29], v[64:65], -v[66:67]
	v_add_f64 v[48:49], v[95:96], -v[26:27]
	v_add_f64 v[54:55], v[38:39], -v[16:17]
	v_add_f64 v[66:67], v[14:15], v[22:23]
	v_add_f64 v[74:75], v[12:13], -v[20:21]
	v_add_f64 v[76:77], v[12:13], v[20:21]
	v_add_f64 v[34:35], v[42:43], v[34:35]
	;; [unrolled: 1-line block ×4, first 2 shown]
	v_add_f64 v[52:53], v[70:71], -v[24:25]
	v_add_f64 v[56:57], v[44:45], -v[4:5]
	v_add_f64 v[44:45], v[44:45], v[4:5]
	v_add_f64 v[58:59], v[70:71], v[24:25]
	v_add_f64 v[68:69], v[14:15], -v[22:23]
	v_mul_f64 v[91:92], v[40:41], s[20:21]
	v_mul_f64 v[99:100], v[46:47], s[26:27]
	;; [unrolled: 1-line block ×8, first 2 shown]
	v_add_f64 v[60:61], v[10:11], v[30:31]
	v_add_f64 v[62:63], v[8:9], -v[28:29]
	v_add_f64 v[64:65], v[10:11], -v[30:31]
	v_add_f64 v[72:73], v[8:9], v[28:29]
	v_mul_f64 v[89:90], v[36:37], s[18:19]
	v_mul_f64 v[97:98], v[50:51], s[28:29]
	;; [unrolled: 1-line block ×18, first 2 shown]
	v_add_f64 v[34:35], v[34:35], v[95:96]
	v_add_f64 v[42:43], v[42:43], v[70:71]
	v_mul_f64 v[95:96], v[40:41], s[4:5]
	v_mul_f64 v[40:41], v[40:41], s[18:19]
	;; [unrolled: 1-line block ×6, first 2 shown]
	v_fma_f64 v[165:166], v[56:57], s[22:23], v[91:92]
	v_fma_f64 v[171:172], v[44:45], s[20:21], v[99:100]
	;; [unrolled: 1-line block ×3, first 2 shown]
	v_fma_f64 v[99:100], v[44:45], s[20:21], -v[99:100]
	v_fma_f64 v[175:176], v[44:45], s[0:1], v[103:104]
	v_fma_f64 v[103:104], v[44:45], s[0:1], -v[103:104]
	v_fma_f64 v[183:184], v[44:45], s[4:5], v[115:116]
	;; [unrolled: 2-line block ×3, first 2 shown]
	v_fma_f64 v[101:102], v[56:57], s[30:31], v[101:102]
	v_fma_f64 v[177:178], v[56:57], s[16:17], v[109:110]
	;; [unrolled: 1-line block ×4, first 2 shown]
	v_fma_f64 v[111:112], v[44:45], s[14:15], -v[111:112]
	v_fma_f64 v[187:188], v[44:45], s[18:19], v[46:47]
	v_fma_f64 v[44:45], v[44:45], s[18:19], -v[46:47]
	v_mul_f64 v[155:156], v[68:69], s[34:35]
	v_mul_f64 v[159:160], v[68:69], s[30:31]
	;; [unrolled: 1-line block ×3, first 2 shown]
	v_fma_f64 v[169:170], v[38:39], s[18:19], v[97:98]
	v_fma_f64 v[97:98], v[38:39], s[18:19], -v[97:98]
	v_fma_f64 v[195:196], v[38:39], s[20:21], v[123:124]
	v_fma_f64 v[123:124], v[38:39], s[20:21], -v[123:124]
	v_fma_f64 v[197:198], v[54:55], s[12:13], v[127:128]
	v_fma_f64 v[127:128], v[54:55], s[30:31], v[127:128]
	;; [unrolled: 1-line block ×4, first 2 shown]
	v_mul_f64 v[133:134], v[60:61], s[4:5]
	v_mul_f64 v[139:140], v[60:61], s[14:15]
	;; [unrolled: 1-line block ×3, first 2 shown]
	v_add_f64 v[10:11], v[34:35], v[10:11]
	v_add_f64 v[8:9], v[42:43], v[8:9]
	v_fma_f64 v[181:182], v[56:57], s[34:35], v[95:96]
	v_fma_f64 v[95:96], v[56:57], s[10:11], v[95:96]
	;; [unrolled: 1-line block ×4, first 2 shown]
	v_mul_f64 v[34:35], v[68:69], s[26:27]
	v_fma_f64 v[68:69], v[54:55], s[24:25], v[89:90]
	v_fma_f64 v[89:90], v[54:55], s[28:29], v[89:90]
	;; [unrolled: 1-line block ×6, first 2 shown]
	v_add_f64 v[91:92], v[2:3], v[91:92]
	v_add_f64 v[99:100], v[0:1], v[99:100]
	;; [unrolled: 1-line block ×5, first 2 shown]
	v_fma_f64 v[42:43], v[52:53], s[12:13], v[78:79]
	v_fma_f64 v[167:168], v[58:59], s[0:1], v[93:94]
	v_add_f64 v[109:110], v[2:3], v[109:110]
	v_add_f64 v[111:112], v[0:1], v[111:112]
	v_fma_f64 v[78:79], v[52:53], s[30:31], v[78:79]
	v_fma_f64 v[93:94], v[58:59], s[0:1], -v[93:94]
	v_mul_f64 v[135:136], v[60:61], s[20:21]
	v_mul_f64 v[137:138], v[60:61], s[18:19]
	;; [unrolled: 1-line block ×6, first 2 shown]
	v_fma_f64 v[46:47], v[52:53], s[28:29], v[105:106]
	v_fma_f64 v[189:190], v[58:59], s[18:19], v[113:114]
	v_fma_f64 v[113:114], v[58:59], s[18:19], -v[113:114]
	v_fma_f64 v[193:194], v[58:59], s[4:5], v[121:122]
	v_fma_f64 v[121:122], v[58:59], s[4:5], -v[121:122]
	v_fma_f64 v[105:106], v[52:53], s[24:25], v[105:106]
	v_mul_f64 v[64:65], v[64:65], s[30:31]
	v_mul_f64 v[153:154], v[66:67], s[4:5]
	v_add_f64 v[10:11], v[10:11], v[14:15]
	v_add_f64 v[8:9], v[8:9], v[12:13]
	v_fma_f64 v[12:13], v[38:39], s[14:15], -v[70:71]
	v_fma_f64 v[70:71], v[54:55], s[26:27], v[119:120]
	v_fma_f64 v[119:120], v[54:55], s[22:23], v[119:120]
	;; [unrolled: 1-line block ×3, first 2 shown]
	v_fma_f64 v[131:132], v[38:39], s[0:1], -v[131:132]
	v_fma_f64 v[38:39], v[38:39], s[4:5], -v[50:51]
	v_add_f64 v[50:51], v[2:3], v[165:166]
	v_add_f64 v[165:166], v[0:1], v[171:172]
	;; [unrolled: 1-line block ×13, first 2 shown]
	v_fma_f64 v[44:45], v[52:53], s[22:23], v[125:126]
	v_add_f64 v[89:90], v[89:90], v[91:92]
	v_add_f64 v[91:92], v[97:98], v[99:100]
	v_fma_f64 v[14:15], v[52:53], s[10:11], v[117:118]
	v_fma_f64 v[117:118], v[52:53], s[34:35], v[117:118]
	v_add_f64 v[99:100], v[107:108], v[101:102]
	v_add_f64 v[107:108], v[123:124], v[111:112]
	v_mul_f64 v[157:158], v[66:67], s[0:1]
	v_mul_f64 v[161:162], v[66:67], s[18:19]
	;; [unrolled: 1-line block ×3, first 2 shown]
	v_fma_f64 v[203:204], v[62:63], s[36:37], v[139:140]
	v_fma_f64 v[139:140], v[62:63], s[16:17], v[139:140]
	;; [unrolled: 1-line block ×6, first 2 shown]
	v_fma_f64 v[123:124], v[72:73], s[18:19], -v[145:146]
	v_add_f64 v[10:11], v[10:11], v[22:23]
	v_add_f64 v[8:9], v[8:9], v[20:21]
	v_fma_f64 v[20:21], v[52:53], s[26:27], v[125:126]
	v_fma_f64 v[125:126], v[58:59], s[20:21], -v[129:130]
	v_add_f64 v[12:13], v[12:13], v[103:104]
	v_add_f64 v[101:102], v[119:120], v[109:110]
	;; [unrolled: 1-line block ×3, first 2 shown]
	v_fma_f64 v[22:23], v[58:59], s[20:21], v[129:130]
	v_add_f64 v[50:51], v[68:69], v[50:51]
	v_add_f64 v[68:69], v[169:170], v[165:166]
	;; [unrolled: 1-line block ×9, first 2 shown]
	v_fma_f64 v[129:130], v[52:53], s[16:17], v[32:33]
	v_fma_f64 v[32:33], v[52:53], s[36:37], v[32:33]
	;; [unrolled: 1-line block ×3, first 2 shown]
	v_fma_f64 v[48:49], v[58:59], s[14:15], -v[48:49]
	v_add_f64 v[2:3], v[36:37], v[2:3]
	v_add_f64 v[36:37], v[38:39], v[40:41]
	;; [unrolled: 1-line block ×4, first 2 shown]
	v_fma_f64 v[58:59], v[62:63], s[10:11], v[133:134]
	v_fma_f64 v[133:134], v[62:63], s[34:35], v[133:134]
	v_fma_f64 v[131:132], v[72:73], s[14:15], -v[147:148]
	v_fma_f64 v[38:39], v[72:73], s[4:5], v[141:142]
	v_fma_f64 v[40:41], v[72:73], s[4:5], -v[141:142]
	v_fma_f64 v[119:120], v[72:73], s[18:19], v[145:146]
	v_fma_f64 v[127:128], v[72:73], s[14:15], v[147:148]
	;; [unrolled: 1-line block ×3, first 2 shown]
	v_fma_f64 v[64:65], v[72:73], s[0:1], -v[64:65]
	v_fma_f64 v[145:146], v[74:75], s[36:37], v[149:150]
	v_fma_f64 v[147:148], v[76:77], s[14:15], -v[151:152]
	v_add_f64 v[10:11], v[10:11], v[30:31]
	v_add_f64 v[8:9], v[8:9], v[28:29]
	v_fma_f64 v[28:29], v[62:63], s[12:13], v[60:61]
	v_fma_f64 v[30:31], v[62:63], s[30:31], v[60:61]
	;; [unrolled: 1-line block ×3, first 2 shown]
	v_fma_f64 v[62:63], v[72:73], s[20:21], -v[143:144]
	v_add_f64 v[12:13], v[113:114], v[12:13]
	v_fma_f64 v[72:73], v[74:75], s[16:17], v[149:150]
	v_add_f64 v[42:43], v[42:43], v[50:51]
	v_add_f64 v[50:51], v[167:168], v[68:69]
	;; [unrolled: 1-line block ×19, first 2 shown]
	v_fma_f64 v[36:37], v[74:75], s[34:35], v[153:154]
	v_fma_f64 v[52:53], v[74:75], s[12:13], v[157:158]
	;; [unrolled: 1-line block ×5, first 2 shown]
	v_fma_f64 v[109:110], v[76:77], s[18:19], -v[163:164]
	v_fma_f64 v[111:112], v[74:75], s[22:23], v[66:67]
	v_fma_f64 v[113:114], v[76:77], s[20:21], v[34:35]
	;; [unrolled: 1-line block ×3, first 2 shown]
	v_fma_f64 v[101:102], v[76:77], s[0:1], -v[159:160]
	v_fma_f64 v[48:49], v[76:77], s[4:5], -v[155:156]
	v_add_f64 v[10:11], v[10:11], v[26:27]
	v_add_f64 v[8:9], v[8:9], v[24:25]
	v_fma_f64 v[24:25], v[74:75], s[10:11], v[153:154]
	v_fma_f64 v[74:75], v[76:77], s[20:21], -v[34:35]
	v_fma_f64 v[26:27], v[76:77], s[4:5], v[155:156]
	v_fma_f64 v[143:144], v[76:77], s[14:15], v[151:152]
	v_fma_f64 v[97:98], v[76:77], s[0:1], v[159:160]
	v_fma_f64 v[105:106], v[76:77], s[18:19], v[163:164]
	v_add_f64 v[34:35], v[58:59], v[42:43]
	v_add_f64 v[38:39], v[38:39], v[50:51]
	;; [unrolled: 1-line block ×42, first 2 shown]
	v_and_b32_e32 v44, 0xffff, v87
	v_lshlrev_b32_e32 v45, 4, v88
	s_delay_alu instid0(VALU_DEP_2) | instskip(NEXT) | instid1(VALU_DEP_1)
	v_mul_u32_u24_e32 v44, 0x8f0, v44
	v_add3_u32 v44, 0, v44, v45
	v_add_f64 v[6:7], v[93:94], v[6:7]
	v_add_f64 v[4:5], v[95:96], v[4:5]
	ds_store_b128 v44, v[28:31] offset:416
	ds_store_b128 v44, v[24:27] offset:624
	;; [unrolled: 1-line block ×9, first 2 shown]
	ds_store_b128 v44, v[4:7]
	ds_store_b128 v44, v[36:39] offset:2080
.LBB0_19:
	s_or_b32 exec_lo, exec_lo, s33
	s_waitcnt lgkmcnt(0)
	s_barrier
	buffer_gl0_inv
	s_and_saveexec_b32 s0, vcc_lo
	s_cbranch_execz .LBB0_21
; %bb.20:
	v_mul_u32_u24_e32 v0, 9, v85
	s_mov_b32 s0, 0x134454ff
	s_mov_b32 s1, 0x3fee6f0e
	;; [unrolled: 1-line block ×4, first 2 shown]
	v_lshlrev_b32_e32 v32, 4, v0
	s_mov_b32 s11, 0xbfe2cf23
	s_mov_b32 s12, 0x372fe950
	;; [unrolled: 1-line block ×4, first 2 shown]
	s_clause 0x8
	global_load_b128 v[0:3], v32, s[8:9] offset:2112
	global_load_b128 v[4:7], v32, s[8:9] offset:2144
	;; [unrolled: 1-line block ×9, first 2 shown]
	ds_load_b128 v[36:39], v86 offset:6864
	ds_load_b128 v[40:43], v86 offset:11440
	;; [unrolled: 1-line block ×4, first 2 shown]
	s_mov_b32 s8, 0x4755a5e
	s_mov_b32 s9, 0x3fe2cf23
	;; [unrolled: 1-line block ×4, first 2 shown]
	s_waitcnt vmcnt(8) lgkmcnt(3)
	v_mul_f64 v[54:55], v[2:3], v[38:39]
	s_waitcnt vmcnt(7) lgkmcnt(2)
	v_mul_f64 v[56:57], v[6:7], v[42:43]
	v_mul_f64 v[38:39], v[0:1], v[38:39]
	;; [unrolled: 1-line block ×3, first 2 shown]
	s_waitcnt vmcnt(6) lgkmcnt(1)
	v_mul_f64 v[58:59], v[8:9], v[46:47]
	s_waitcnt vmcnt(5) lgkmcnt(0)
	v_mul_f64 v[60:61], v[12:13], v[50:51]
	v_mul_f64 v[62:63], v[14:15], v[50:51]
	;; [unrolled: 1-line block ×3, first 2 shown]
	ds_load_b128 v[50:53], v86 offset:2288
	s_waitcnt vmcnt(4) lgkmcnt(0)
	v_mul_f64 v[64:65], v[18:19], v[52:53]
	v_mul_f64 v[52:53], v[16:17], v[52:53]
	v_fma_f64 v[54:55], v[0:1], v[36:37], -v[54:55]
	v_fma_f64 v[56:57], v[4:5], v[40:41], -v[56:57]
	v_fma_f64 v[36:37], v[36:37], v[2:3], v[38:39]
	v_fma_f64 v[38:39], v[40:41], v[6:7], v[42:43]
	;; [unrolled: 1-line block ×4, first 2 shown]
	v_fma_f64 v[48:49], v[12:13], v[48:49], -v[62:63]
	v_fma_f64 v[44:45], v[8:9], v[44:45], -v[46:47]
	ds_load_b128 v[0:3], v86 offset:9152
	ds_load_b128 v[4:7], v86 offset:13728
	;; [unrolled: 1-line block ×4, first 2 shown]
	s_waitcnt vmcnt(3) lgkmcnt(3)
	v_mul_f64 v[46:47], v[20:21], v[2:3]
	s_waitcnt vmcnt(2) lgkmcnt(2)
	v_mul_f64 v[58:59], v[24:25], v[6:7]
	s_waitcnt vmcnt(1) lgkmcnt(1)
	v_mul_f64 v[60:61], v[28:29], v[10:11]
	s_waitcnt vmcnt(0) lgkmcnt(0)
	v_mul_f64 v[62:63], v[32:33], v[14:15]
	v_mul_f64 v[2:3], v[22:23], v[2:3]
	v_mul_f64 v[6:7], v[26:27], v[6:7]
	v_fma_f64 v[16:17], v[16:17], v[50:51], -v[64:65]
	v_fma_f64 v[18:19], v[50:51], v[18:19], v[52:53]
	v_mul_f64 v[10:11], v[30:31], v[10:11]
	v_mul_f64 v[14:15], v[34:35], v[14:15]
	v_add_f64 v[68:69], v[56:57], -v[54:55]
	v_add_f64 v[72:73], v[38:39], -v[36:37]
	v_add_f64 v[50:51], v[38:39], v[40:41]
	v_add_f64 v[52:53], v[36:37], v[42:43]
	;; [unrolled: 1-line block ×4, first 2 shown]
	v_add_f64 v[70:71], v[44:45], -v[48:49]
	v_add_f64 v[74:75], v[40:41], -v[42:43]
	v_fma_f64 v[22:23], v[22:23], v[0:1], v[46:47]
	v_fma_f64 v[26:27], v[26:27], v[4:5], v[58:59]
	;; [unrolled: 1-line block ×4, first 2 shown]
	v_fma_f64 v[20:21], v[0:1], v[20:21], -v[2:3]
	v_fma_f64 v[4:5], v[4:5], v[24:25], -v[6:7]
	v_add_f64 v[6:7], v[36:37], -v[42:43]
	v_add_f64 v[24:25], v[38:39], -v[40:41]
	;; [unrolled: 1-line block ×3, first 2 shown]
	v_fma_f64 v[8:9], v[8:9], v[28:29], -v[10:11]
	v_fma_f64 v[10:11], v[12:13], v[32:33], -v[14:15]
	v_add_f64 v[46:47], v[56:57], -v[44:45]
	v_add_f64 v[14:15], v[54:55], -v[56:57]
	;; [unrolled: 1-line block ×4, first 2 shown]
	ds_load_b128 v[0:3], v86
	v_fma_f64 v[50:51], v[50:51], -0.5, v[18:19]
	v_fma_f64 v[52:53], v[52:53], -0.5, v[18:19]
	;; [unrolled: 1-line block ×4, first 2 shown]
	v_add_f64 v[64:65], v[42:43], -v[40:41]
	v_add_f64 v[18:19], v[36:37], v[18:19]
	v_add_f64 v[16:17], v[54:55], v[16:17]
	;; [unrolled: 1-line block ×4, first 2 shown]
	s_waitcnt lgkmcnt(0)
	v_add_f64 v[97:98], v[30:31], v[2:3]
	v_add_f64 v[66:67], v[30:31], v[34:35]
	v_add_f64 v[36:37], v[30:31], -v[34:35]
	v_add_f64 v[76:77], v[20:21], v[4:5]
	v_add_f64 v[99:100], v[22:23], -v[26:27]
	v_add_f64 v[93:94], v[20:21], -v[4:5]
	v_add_f64 v[101:102], v[8:9], v[0:1]
	v_add_f64 v[91:92], v[8:9], v[10:11]
	v_add_f64 v[95:96], v[8:9], -v[10:11]
	v_add_f64 v[74:75], v[10:11], -v[4:5]
	v_add_f64 v[14:15], v[14:15], v[28:29]
	v_fma_f64 v[78:79], v[58:59], s[0:1], v[50:51]
	v_fma_f64 v[50:51], v[58:59], s[4:5], v[50:51]
	;; [unrolled: 1-line block ×8, first 2 shown]
	v_add_f64 v[28:29], v[32:33], v[64:65]
	v_add_f64 v[32:33], v[68:69], v[70:71]
	;; [unrolled: 1-line block ×4, first 2 shown]
	v_fma_f64 v[12:13], v[12:13], -0.5, v[2:3]
	v_fma_f64 v[2:3], v[66:67], -0.5, v[2:3]
	;; [unrolled: 1-line block ×3, first 2 shown]
	v_add_f64 v[76:77], v[4:5], -v[10:11]
	v_fma_f64 v[0:1], v[91:92], -0.5, v[0:1]
	v_fma_f64 v[66:67], v[46:47], s[8:9], v[78:79]
	v_fma_f64 v[46:47], v[46:47], s[10:11], v[50:51]
	;; [unrolled: 1-line block ×6, first 2 shown]
	v_mov_b32_e32 v85, 0
	v_fma_f64 v[6:7], v[6:7], s[10:11], v[60:61]
	v_fma_f64 v[50:51], v[58:59], s[10:11], v[52:53]
	v_add_f64 v[52:53], v[30:31], -v[22:23]
	v_add_f64 v[30:31], v[22:23], -v[30:31]
	;; [unrolled: 1-line block ×4, first 2 shown]
	v_add_f64 v[22:23], v[22:23], v[97:98]
	v_add_f64 v[20:21], v[20:21], v[101:102]
	v_add_f64 v[58:59], v[34:35], -v[26:27]
	v_add_f64 v[60:61], v[26:27], -v[34:35]
	v_add_f64 v[18:19], v[40:41], v[18:19]
	v_add_f64 v[16:17], v[44:45], v[16:17]
	v_fma_f64 v[38:39], v[95:96], s[0:1], v[12:13]
	v_fma_f64 v[12:13], v[95:96], s[4:5], v[12:13]
	;; [unrolled: 1-line block ×16, first 2 shown]
	v_add_f64 v[50:51], v[62:63], v[74:75]
	v_add_f64 v[8:9], v[8:9], v[76:77]
	;; [unrolled: 1-line block ×7, first 2 shown]
	v_fma_f64 v[20:21], v[93:94], s[8:9], v[38:39]
	v_fma_f64 v[12:13], v[93:94], s[10:11], v[12:13]
	;; [unrolled: 1-line block ×5, first 2 shown]
	v_mul_f64 v[40:41], v[66:67], s[14:15]
	v_mul_f64 v[60:61], v[28:29], s[8:9]
	;; [unrolled: 1-line block ×5, first 2 shown]
	v_fma_f64 v[24:25], v[36:37], s[10:11], v[24:25]
	v_fma_f64 v[0:1], v[36:37], s[8:9], v[0:1]
	;; [unrolled: 1-line block ×3, first 2 shown]
	v_mul_f64 v[62:63], v[32:33], s[0:1]
	v_mul_f64 v[44:45], v[68:69], s[12:13]
	;; [unrolled: 1-line block ×3, first 2 shown]
	v_mul_lo_u32 v64, s3, v82
	v_mul_lo_u32 v65, s2, v83
	v_add_f64 v[22:23], v[34:35], v[22:23]
	v_add_f64 v[4:5], v[10:11], v[4:5]
	;; [unrolled: 1-line block ×3, first 2 shown]
	v_fma_f64 v[16:17], v[46:47], s[12:13], v[20:21]
	v_fma_f64 v[12:13], v[46:47], s[12:13], v[12:13]
	;; [unrolled: 1-line block ×5, first 2 shown]
	v_fma_f64 v[26:27], v[14:15], s[10:11], -v[40:41]
	v_fma_f64 v[32:33], v[32:33], s[12:13], v[52:53]
	v_fma_f64 v[28:29], v[28:29], s[14:15], v[54:55]
	;; [unrolled: 1-line block ×3, first 2 shown]
	v_fma_f64 v[40:41], v[66:67], s[8:9], -v[56:57]
	v_fma_f64 v[46:47], v[8:9], s[12:13], v[0:1]
	v_fma_f64 v[48:49], v[50:51], s[12:13], v[36:37]
	;; [unrolled: 1-line block ×3, first 2 shown]
	v_fma_f64 v[30:31], v[6:7], s[4:5], -v[44:45]
	v_fma_f64 v[44:45], v[8:9], s[12:13], v[24:25]
	v_fma_f64 v[50:51], v[68:69], s[0:1], -v[58:59]
	v_mad_u64_u32 v[0:1], null, s2, v82, 0
	v_add_f64 v[6:7], v[22:23], v[18:19]
	v_add_f64 v[2:3], v[22:23], -v[18:19]
	v_lshlrev_b64 v[56:57], 4, v[80:81]
	v_lshlrev_b64 v[58:59], 4, v[84:85]
	v_add3_u32 v1, v1, v65, v64
	s_delay_alu instid0(VALU_DEP_1) | instskip(NEXT) | instid1(VALU_DEP_1)
	v_lshlrev_b64 v[0:1], 4, v[0:1]
	v_add_co_u32 v60, vcc_lo, s6, v0
	s_delay_alu instid0(VALU_DEP_2)
	v_add_co_ci_u32_e32 v61, vcc_lo, s7, v1, vcc_lo
	v_add_f64 v[0:1], v[4:5], -v[10:11]
	v_add_f64 v[4:5], v[4:5], v[10:11]
	v_add_f64 v[10:11], v[16:17], -v[26:27]
	v_add_f64 v[26:27], v[16:17], v[26:27]
	v_add_f64 v[18:19], v[34:35], -v[32:33]
	v_add_f64 v[38:39], v[12:13], v[28:29]
	v_add_f64 v[34:35], v[34:35], v[32:33]
	v_add_f64 v[22:23], v[12:13], -v[28:29]
	v_add_f64 v[24:25], v[42:43], v[40:41]
	v_add_f64 v[36:37], v[48:49], v[52:53]
	v_add_f64 v[32:33], v[46:47], v[54:55]
	v_add_f64 v[14:15], v[20:21], -v[30:31]
	v_add_f64 v[30:31], v[20:21], v[30:31]
	v_add_f64 v[28:29], v[44:45], v[50:51]
	v_add_f64 v[20:21], v[48:49], -v[52:53]
	v_add_f64 v[16:17], v[46:47], -v[54:55]
	;; [unrolled: 1-line block ×4, first 2 shown]
	v_add_co_u32 v40, vcc_lo, v60, v56
	v_add_co_ci_u32_e32 v41, vcc_lo, v61, v57, vcc_lo
	s_delay_alu instid0(VALU_DEP_2) | instskip(NEXT) | instid1(VALU_DEP_2)
	v_add_co_u32 v40, vcc_lo, v40, v58
	v_add_co_ci_u32_e32 v41, vcc_lo, v41, v59, vcc_lo
	s_delay_alu instid0(VALU_DEP_2) | instskip(NEXT) | instid1(VALU_DEP_2)
	v_add_co_u32 v42, vcc_lo, 0x1000, v40
	v_add_co_ci_u32_e32 v43, vcc_lo, 0, v41, vcc_lo
	v_add_co_u32 v44, vcc_lo, 0x2000, v40
	v_add_co_ci_u32_e32 v45, vcc_lo, 0, v41, vcc_lo
	;; [unrolled: 2-line block ×5, first 2 shown]
	s_clause 0x9
	global_store_b128 v[40:41], v[4:7], off
	global_store_b128 v[40:41], v[36:39], off offset:2288
	global_store_b128 v[42:43], v[32:35], off offset:480
	;; [unrolled: 1-line block ×9, first 2 shown]
.LBB0_21:
	s_nop 0
	s_sendmsg sendmsg(MSG_DEALLOC_VGPRS)
	s_endpgm
	.section	.rodata,"a",@progbits
	.p2align	6, 0x0
	.amdhsa_kernel fft_rtc_fwd_len1430_factors_13_11_10_wgs_143_tpt_143_dp_op_CI_CI_unitstride_sbrr_dirReg
		.amdhsa_group_segment_fixed_size 0
		.amdhsa_private_segment_fixed_size 0
		.amdhsa_kernarg_size 104
		.amdhsa_user_sgpr_count 15
		.amdhsa_user_sgpr_dispatch_ptr 0
		.amdhsa_user_sgpr_queue_ptr 0
		.amdhsa_user_sgpr_kernarg_segment_ptr 1
		.amdhsa_user_sgpr_dispatch_id 0
		.amdhsa_user_sgpr_private_segment_size 0
		.amdhsa_wavefront_size32 1
		.amdhsa_uses_dynamic_stack 0
		.amdhsa_enable_private_segment 0
		.amdhsa_system_sgpr_workgroup_id_x 1
		.amdhsa_system_sgpr_workgroup_id_y 0
		.amdhsa_system_sgpr_workgroup_id_z 0
		.amdhsa_system_sgpr_workgroup_info 0
		.amdhsa_system_vgpr_workitem_id 0
		.amdhsa_next_free_vgpr 205
		.amdhsa_next_free_sgpr 44
		.amdhsa_reserve_vcc 1
		.amdhsa_float_round_mode_32 0
		.amdhsa_float_round_mode_16_64 0
		.amdhsa_float_denorm_mode_32 3
		.amdhsa_float_denorm_mode_16_64 3
		.amdhsa_dx10_clamp 1
		.amdhsa_ieee_mode 1
		.amdhsa_fp16_overflow 0
		.amdhsa_workgroup_processor_mode 1
		.amdhsa_memory_ordered 1
		.amdhsa_forward_progress 0
		.amdhsa_shared_vgpr_count 0
		.amdhsa_exception_fp_ieee_invalid_op 0
		.amdhsa_exception_fp_denorm_src 0
		.amdhsa_exception_fp_ieee_div_zero 0
		.amdhsa_exception_fp_ieee_overflow 0
		.amdhsa_exception_fp_ieee_underflow 0
		.amdhsa_exception_fp_ieee_inexact 0
		.amdhsa_exception_int_div_zero 0
	.end_amdhsa_kernel
	.text
.Lfunc_end0:
	.size	fft_rtc_fwd_len1430_factors_13_11_10_wgs_143_tpt_143_dp_op_CI_CI_unitstride_sbrr_dirReg, .Lfunc_end0-fft_rtc_fwd_len1430_factors_13_11_10_wgs_143_tpt_143_dp_op_CI_CI_unitstride_sbrr_dirReg
                                        ; -- End function
	.section	.AMDGPU.csdata,"",@progbits
; Kernel info:
; codeLenInByte = 11032
; NumSgprs: 46
; NumVgprs: 205
; ScratchSize: 0
; MemoryBound: 1
; FloatMode: 240
; IeeeMode: 1
; LDSByteSize: 0 bytes/workgroup (compile time only)
; SGPRBlocks: 5
; VGPRBlocks: 25
; NumSGPRsForWavesPerEU: 46
; NumVGPRsForWavesPerEU: 205
; Occupancy: 7
; WaveLimiterHint : 1
; COMPUTE_PGM_RSRC2:SCRATCH_EN: 0
; COMPUTE_PGM_RSRC2:USER_SGPR: 15
; COMPUTE_PGM_RSRC2:TRAP_HANDLER: 0
; COMPUTE_PGM_RSRC2:TGID_X_EN: 1
; COMPUTE_PGM_RSRC2:TGID_Y_EN: 0
; COMPUTE_PGM_RSRC2:TGID_Z_EN: 0
; COMPUTE_PGM_RSRC2:TIDIG_COMP_CNT: 0
	.text
	.p2alignl 7, 3214868480
	.fill 96, 4, 3214868480
	.type	__hip_cuid_42c515cca4b9391f,@object ; @__hip_cuid_42c515cca4b9391f
	.section	.bss,"aw",@nobits
	.globl	__hip_cuid_42c515cca4b9391f
__hip_cuid_42c515cca4b9391f:
	.byte	0                               ; 0x0
	.size	__hip_cuid_42c515cca4b9391f, 1

	.ident	"AMD clang version 19.0.0git (https://github.com/RadeonOpenCompute/llvm-project roc-6.4.0 25133 c7fe45cf4b819c5991fe208aaa96edf142730f1d)"
	.section	".note.GNU-stack","",@progbits
	.addrsig
	.addrsig_sym __hip_cuid_42c515cca4b9391f
	.amdgpu_metadata
---
amdhsa.kernels:
  - .args:
      - .actual_access:  read_only
        .address_space:  global
        .offset:         0
        .size:           8
        .value_kind:     global_buffer
      - .offset:         8
        .size:           8
        .value_kind:     by_value
      - .actual_access:  read_only
        .address_space:  global
        .offset:         16
        .size:           8
        .value_kind:     global_buffer
      - .actual_access:  read_only
        .address_space:  global
        .offset:         24
        .size:           8
        .value_kind:     global_buffer
      - .actual_access:  read_only
        .address_space:  global
        .offset:         32
        .size:           8
        .value_kind:     global_buffer
      - .offset:         40
        .size:           8
        .value_kind:     by_value
      - .actual_access:  read_only
        .address_space:  global
        .offset:         48
        .size:           8
        .value_kind:     global_buffer
      - .actual_access:  read_only
        .address_space:  global
        .offset:         56
        .size:           8
        .value_kind:     global_buffer
      - .offset:         64
        .size:           4
        .value_kind:     by_value
      - .actual_access:  read_only
        .address_space:  global
        .offset:         72
        .size:           8
        .value_kind:     global_buffer
      - .actual_access:  read_only
        .address_space:  global
        .offset:         80
        .size:           8
        .value_kind:     global_buffer
      - .actual_access:  read_only
        .address_space:  global
        .offset:         88
        .size:           8
        .value_kind:     global_buffer
      - .actual_access:  write_only
        .address_space:  global
        .offset:         96
        .size:           8
        .value_kind:     global_buffer
    .group_segment_fixed_size: 0
    .kernarg_segment_align: 8
    .kernarg_segment_size: 104
    .language:       OpenCL C
    .language_version:
      - 2
      - 0
    .max_flat_workgroup_size: 143
    .name:           fft_rtc_fwd_len1430_factors_13_11_10_wgs_143_tpt_143_dp_op_CI_CI_unitstride_sbrr_dirReg
    .private_segment_fixed_size: 0
    .sgpr_count:     46
    .sgpr_spill_count: 0
    .symbol:         fft_rtc_fwd_len1430_factors_13_11_10_wgs_143_tpt_143_dp_op_CI_CI_unitstride_sbrr_dirReg.kd
    .uniform_work_group_size: 1
    .uses_dynamic_stack: false
    .vgpr_count:     205
    .vgpr_spill_count: 0
    .wavefront_size: 32
    .workgroup_processor_mode: 1
amdhsa.target:   amdgcn-amd-amdhsa--gfx1100
amdhsa.version:
  - 1
  - 2
...

	.end_amdgpu_metadata
